;; amdgpu-corpus repo=ROCm/rocFFT kind=compiled arch=gfx906 opt=O3
	.text
	.amdgcn_target "amdgcn-amd-amdhsa--gfx906"
	.amdhsa_code_object_version 6
	.protected	fft_rtc_back_len1920_factors_10_6_16_2_wgs_240_tpt_120_halfLds_sp_op_CI_CI_unitstride_sbrr_C2R_dirReg ; -- Begin function fft_rtc_back_len1920_factors_10_6_16_2_wgs_240_tpt_120_halfLds_sp_op_CI_CI_unitstride_sbrr_C2R_dirReg
	.globl	fft_rtc_back_len1920_factors_10_6_16_2_wgs_240_tpt_120_halfLds_sp_op_CI_CI_unitstride_sbrr_C2R_dirReg
	.p2align	8
	.type	fft_rtc_back_len1920_factors_10_6_16_2_wgs_240_tpt_120_halfLds_sp_op_CI_CI_unitstride_sbrr_C2R_dirReg,@function
fft_rtc_back_len1920_factors_10_6_16_2_wgs_240_tpt_120_halfLds_sp_op_CI_CI_unitstride_sbrr_C2R_dirReg: ; @fft_rtc_back_len1920_factors_10_6_16_2_wgs_240_tpt_120_halfLds_sp_op_CI_CI_unitstride_sbrr_C2R_dirReg
; %bb.0:
	s_load_dwordx4 s[8:11], s[4:5], 0x58
	s_load_dwordx4 s[12:15], s[4:5], 0x0
	;; [unrolled: 1-line block ×3, first 2 shown]
	v_mul_u32_u24_e32 v1, 0x223, v0
	v_lshrrev_b32_e32 v7, 16, v1
	v_mov_b32_e32 v3, 0
	s_waitcnt lgkmcnt(0)
	v_cmp_lt_u64_e64 s[0:1], s[14:15], 2
	v_mov_b32_e32 v1, 0
	v_lshl_add_u32 v5, s6, 1, v7
	v_mov_b32_e32 v6, v3
	s_and_b64 vcc, exec, s[0:1]
	v_mov_b32_e32 v2, 0
	s_cbranch_vccnz .LBB0_8
; %bb.1:
	s_load_dwordx2 s[0:1], s[4:5], 0x10
	s_add_u32 s2, s18, 8
	s_addc_u32 s3, s19, 0
	s_add_u32 s6, s16, 8
	v_mov_b32_e32 v1, 0
	s_addc_u32 s7, s17, 0
	v_mov_b32_e32 v2, 0
	s_waitcnt lgkmcnt(0)
	s_add_u32 s20, s0, 8
	v_mov_b32_e32 v37, v2
	s_addc_u32 s21, s1, 0
	s_mov_b64 s[22:23], 1
	v_mov_b32_e32 v36, v1
.LBB0_2:                                ; =>This Inner Loop Header: Depth=1
	s_load_dwordx2 s[24:25], s[20:21], 0x0
                                        ; implicit-def: $vgpr40_vgpr41
	s_waitcnt lgkmcnt(0)
	v_or_b32_e32 v4, s25, v6
	v_cmp_ne_u64_e32 vcc, 0, v[3:4]
	s_and_saveexec_b64 s[0:1], vcc
	s_xor_b64 s[26:27], exec, s[0:1]
	s_cbranch_execz .LBB0_4
; %bb.3:                                ;   in Loop: Header=BB0_2 Depth=1
	v_cvt_f32_u32_e32 v4, s24
	v_cvt_f32_u32_e32 v8, s25
	s_sub_u32 s0, 0, s24
	s_subb_u32 s1, 0, s25
	v_mac_f32_e32 v4, 0x4f800000, v8
	v_rcp_f32_e32 v4, v4
	v_mul_f32_e32 v4, 0x5f7ffffc, v4
	v_mul_f32_e32 v8, 0x2f800000, v4
	v_trunc_f32_e32 v8, v8
	v_mac_f32_e32 v4, 0xcf800000, v8
	v_cvt_u32_f32_e32 v8, v8
	v_cvt_u32_f32_e32 v4, v4
	v_mul_lo_u32 v9, s0, v8
	v_mul_hi_u32 v10, s0, v4
	v_mul_lo_u32 v12, s1, v4
	v_mul_lo_u32 v11, s0, v4
	v_add_u32_e32 v9, v10, v9
	v_add_u32_e32 v9, v9, v12
	v_mul_hi_u32 v10, v4, v11
	v_mul_lo_u32 v12, v4, v9
	v_mul_hi_u32 v14, v4, v9
	v_mul_hi_u32 v13, v8, v11
	v_mul_lo_u32 v11, v8, v11
	v_mul_hi_u32 v15, v8, v9
	v_add_co_u32_e32 v10, vcc, v10, v12
	v_addc_co_u32_e32 v12, vcc, 0, v14, vcc
	v_mul_lo_u32 v9, v8, v9
	v_add_co_u32_e32 v10, vcc, v10, v11
	v_addc_co_u32_e32 v10, vcc, v12, v13, vcc
	v_addc_co_u32_e32 v11, vcc, 0, v15, vcc
	v_add_co_u32_e32 v9, vcc, v10, v9
	v_addc_co_u32_e32 v10, vcc, 0, v11, vcc
	v_add_co_u32_e32 v4, vcc, v4, v9
	v_addc_co_u32_e32 v8, vcc, v8, v10, vcc
	v_mul_lo_u32 v9, s0, v8
	v_mul_hi_u32 v10, s0, v4
	v_mul_lo_u32 v11, s1, v4
	v_mul_lo_u32 v12, s0, v4
	v_add_u32_e32 v9, v10, v9
	v_add_u32_e32 v9, v9, v11
	v_mul_lo_u32 v13, v4, v9
	v_mul_hi_u32 v14, v4, v12
	v_mul_hi_u32 v15, v4, v9
	;; [unrolled: 1-line block ×3, first 2 shown]
	v_mul_lo_u32 v12, v8, v12
	v_mul_hi_u32 v10, v8, v9
	v_add_co_u32_e32 v13, vcc, v14, v13
	v_addc_co_u32_e32 v14, vcc, 0, v15, vcc
	v_mul_lo_u32 v9, v8, v9
	v_add_co_u32_e32 v12, vcc, v13, v12
	v_addc_co_u32_e32 v11, vcc, v14, v11, vcc
	v_addc_co_u32_e32 v10, vcc, 0, v10, vcc
	v_add_co_u32_e32 v9, vcc, v11, v9
	v_addc_co_u32_e32 v10, vcc, 0, v10, vcc
	v_add_co_u32_e32 v4, vcc, v4, v9
	v_addc_co_u32_e32 v10, vcc, v8, v10, vcc
	v_mad_u64_u32 v[8:9], s[0:1], v5, v10, 0
	v_mul_hi_u32 v11, v5, v4
	v_add_co_u32_e32 v12, vcc, v11, v8
	v_addc_co_u32_e32 v13, vcc, 0, v9, vcc
	v_mad_u64_u32 v[8:9], s[0:1], v6, v4, 0
	v_mad_u64_u32 v[10:11], s[0:1], v6, v10, 0
	v_add_co_u32_e32 v4, vcc, v12, v8
	v_addc_co_u32_e32 v4, vcc, v13, v9, vcc
	v_addc_co_u32_e32 v8, vcc, 0, v11, vcc
	v_add_co_u32_e32 v4, vcc, v4, v10
	v_addc_co_u32_e32 v10, vcc, 0, v8, vcc
	v_mul_lo_u32 v11, s25, v4
	v_mul_lo_u32 v12, s24, v10
	v_mad_u64_u32 v[8:9], s[0:1], s24, v4, 0
	v_add3_u32 v9, v9, v12, v11
	v_sub_u32_e32 v11, v6, v9
	v_mov_b32_e32 v12, s25
	v_sub_co_u32_e32 v8, vcc, v5, v8
	v_subb_co_u32_e64 v11, s[0:1], v11, v12, vcc
	v_subrev_co_u32_e64 v12, s[0:1], s24, v8
	v_subbrev_co_u32_e64 v11, s[0:1], 0, v11, s[0:1]
	v_cmp_le_u32_e64 s[0:1], s25, v11
	v_cndmask_b32_e64 v13, 0, -1, s[0:1]
	v_cmp_le_u32_e64 s[0:1], s24, v12
	v_cndmask_b32_e64 v12, 0, -1, s[0:1]
	v_cmp_eq_u32_e64 s[0:1], s25, v11
	v_cndmask_b32_e64 v11, v13, v12, s[0:1]
	v_add_co_u32_e64 v12, s[0:1], 2, v4
	v_addc_co_u32_e64 v13, s[0:1], 0, v10, s[0:1]
	v_add_co_u32_e64 v14, s[0:1], 1, v4
	v_addc_co_u32_e64 v15, s[0:1], 0, v10, s[0:1]
	v_subb_co_u32_e32 v9, vcc, v6, v9, vcc
	v_cmp_ne_u32_e64 s[0:1], 0, v11
	v_cmp_le_u32_e32 vcc, s25, v9
	v_cndmask_b32_e64 v11, v15, v13, s[0:1]
	v_cndmask_b32_e64 v13, 0, -1, vcc
	v_cmp_le_u32_e32 vcc, s24, v8
	v_cndmask_b32_e64 v8, 0, -1, vcc
	v_cmp_eq_u32_e32 vcc, s25, v9
	v_cndmask_b32_e32 v8, v13, v8, vcc
	v_cmp_ne_u32_e32 vcc, 0, v8
	v_cndmask_b32_e64 v8, v14, v12, s[0:1]
	v_cndmask_b32_e32 v41, v10, v11, vcc
	v_cndmask_b32_e32 v40, v4, v8, vcc
.LBB0_4:                                ;   in Loop: Header=BB0_2 Depth=1
	s_andn2_saveexec_b64 s[0:1], s[26:27]
	s_cbranch_execz .LBB0_6
; %bb.5:                                ;   in Loop: Header=BB0_2 Depth=1
	v_cvt_f32_u32_e32 v4, s24
	s_sub_i32 s26, 0, s24
	v_mov_b32_e32 v41, v3
	v_rcp_iflag_f32_e32 v4, v4
	v_mul_f32_e32 v4, 0x4f7ffffe, v4
	v_cvt_u32_f32_e32 v4, v4
	v_mul_lo_u32 v8, s26, v4
	v_mul_hi_u32 v8, v4, v8
	v_add_u32_e32 v4, v4, v8
	v_mul_hi_u32 v4, v5, v4
	v_mul_lo_u32 v8, v4, s24
	v_add_u32_e32 v9, 1, v4
	v_sub_u32_e32 v8, v5, v8
	v_subrev_u32_e32 v10, s24, v8
	v_cmp_le_u32_e32 vcc, s24, v8
	v_cndmask_b32_e32 v8, v8, v10, vcc
	v_cndmask_b32_e32 v4, v4, v9, vcc
	v_add_u32_e32 v9, 1, v4
	v_cmp_le_u32_e32 vcc, s24, v8
	v_cndmask_b32_e32 v40, v4, v9, vcc
.LBB0_6:                                ;   in Loop: Header=BB0_2 Depth=1
	s_or_b64 exec, exec, s[0:1]
	v_mul_lo_u32 v4, v41, s24
	v_mul_lo_u32 v10, v40, s25
	v_mad_u64_u32 v[8:9], s[0:1], v40, s24, 0
	s_load_dwordx2 s[0:1], s[6:7], 0x0
	s_load_dwordx2 s[24:25], s[2:3], 0x0
	v_add3_u32 v4, v9, v10, v4
	v_sub_co_u32_e32 v5, vcc, v5, v8
	v_subb_co_u32_e32 v4, vcc, v6, v4, vcc
	s_waitcnt lgkmcnt(0)
	v_mul_lo_u32 v6, s0, v4
	v_mul_lo_u32 v8, s1, v5
	v_mad_u64_u32 v[1:2], s[0:1], s0, v5, v[1:2]
	v_mul_lo_u32 v4, s24, v4
	v_mul_lo_u32 v9, s25, v5
	v_mad_u64_u32 v[36:37], s[0:1], s24, v5, v[36:37]
	s_add_u32 s22, s22, 1
	s_addc_u32 s23, s23, 0
	s_add_u32 s2, s2, 8
	v_add3_u32 v37, v9, v37, v4
	s_addc_u32 s3, s3, 0
	v_mov_b32_e32 v4, s14
	s_add_u32 s6, s6, 8
	v_mov_b32_e32 v5, s15
	s_addc_u32 s7, s7, 0
	v_cmp_ge_u64_e32 vcc, s[22:23], v[4:5]
	s_add_u32 s20, s20, 8
	v_add3_u32 v2, v8, v2, v6
	s_addc_u32 s21, s21, 0
	s_cbranch_vccnz .LBB0_9
; %bb.7:                                ;   in Loop: Header=BB0_2 Depth=1
	v_mov_b32_e32 v5, v40
	v_mov_b32_e32 v6, v41
	s_branch .LBB0_2
.LBB0_8:
	v_mov_b32_e32 v37, v2
	v_mov_b32_e32 v41, v6
	;; [unrolled: 1-line block ×4, first 2 shown]
.LBB0_9:
	s_load_dwordx2 s[2:3], s[4:5], 0x28
	s_lshl_b64 s[6:7], s[14:15], 3
	s_add_u32 s14, s18, s6
	v_and_b32_e32 v3, 1, v7
	s_addc_u32 s15, s19, s7
	s_waitcnt lgkmcnt(0)
	v_cmp_gt_u64_e64 s[0:1], s[2:3], v[40:41]
	v_cmp_le_u64_e64 s[2:3], s[2:3], v[40:41]
	v_cmp_eq_u32_e32 vcc, 1, v3
	v_mov_b32_e32 v5, 0x781
                                        ; implicit-def: $vgpr38
                                        ; implicit-def: $vgpr3_vgpr4
	s_and_saveexec_b64 s[4:5], s[2:3]
	s_xor_b64 s[2:3], exec, s[4:5]
; %bb.10:
	s_mov_b32 s4, 0x2222223
	v_mul_hi_u32 v1, v0, s4
	v_mov_b32_e32 v39, 0
	v_mul_u32_u24_e32 v1, 0x78, v1
	v_sub_u32_e32 v38, v0, v1
	v_mov_b32_e32 v3, v38
	v_mov_b32_e32 v4, v39
                                        ; implicit-def: $vgpr0
                                        ; implicit-def: $vgpr1_vgpr2
; %bb.11:
	s_or_saveexec_b64 s[4:5], s[2:3]
	s_load_dwordx2 s[2:3], s[14:15], 0x0
	v_cndmask_b32_e32 v49, 0, v5, vcc
	v_lshlrev_b32_e32 v47, 3, v49
	s_xor_b64 exec, exec, s[4:5]
	s_cbranch_execz .LBB0_15
; %bb.12:
	s_add_u32 s6, s16, s6
	s_addc_u32 s7, s17, s7
	s_load_dwordx2 s[6:7], s[6:7], 0x0
	s_mov_b32 s14, 0x2222223
	v_mul_hi_u32 v5, v0, s14
	v_lshlrev_b64 v[1:2], 3, v[1:2]
	v_mov_b32_e32 v39, 0
	s_waitcnt lgkmcnt(0)
	v_mul_lo_u32 v6, s7, v40
	v_mul_lo_u32 v7, s6, v41
	v_mad_u64_u32 v[3:4], s[6:7], s6, v40, 0
	v_mul_u32_u24_e32 v5, 0x78, v5
	v_sub_u32_e32 v38, v0, v5
	v_add3_u32 v4, v4, v7, v6
	v_lshlrev_b64 v[3:4], 3, v[3:4]
	v_mov_b32_e32 v0, s9
	v_add_co_u32_e32 v3, vcc, s8, v3
	v_addc_co_u32_e32 v0, vcc, v0, v4, vcc
	v_add_co_u32_e32 v1, vcc, v3, v1
	v_addc_co_u32_e32 v0, vcc, v0, v2, vcc
	v_lshlrev_b32_e32 v44, 3, v38
	v_add_co_u32_e32 v2, vcc, v1, v44
	v_addc_co_u32_e32 v3, vcc, 0, v0, vcc
	s_movk_i32 s6, 0x1000
	v_add_co_u32_e32 v6, vcc, s6, v2
	v_addc_co_u32_e32 v7, vcc, 0, v3, vcc
	s_movk_i32 s6, 0x2000
	v_add_co_u32_e32 v16, vcc, s6, v2
	v_addc_co_u32_e32 v17, vcc, 0, v3, vcc
	global_load_dwordx2 v[4:5], v[2:3], off offset:2880
	global_load_dwordx2 v[8:9], v[2:3], off offset:3840
	;; [unrolled: 1-line block ×9, first 2 shown]
	global_load_dwordx2 v[26:27], v[2:3], off
	global_load_dwordx2 v[28:29], v[2:3], off offset:1920
	global_load_dwordx2 v[30:31], v[2:3], off offset:960
	v_add_co_u32_e32 v2, vcc, 0x3000, v2
	v_addc_co_u32_e32 v3, vcc, 0, v3, vcc
	global_load_dwordx2 v[6:7], v[16:17], off offset:3328
	global_load_dwordx2 v[32:33], v[2:3], off offset:192
	;; [unrolled: 1-line block ×4, first 2 shown]
	v_add3_u32 v2, 0, v47, v44
	v_add_u32_e32 v3, 0x400, v2
	s_movk_i32 s6, 0x77
	v_add_u32_e32 v16, 0xc00, v2
	v_add_u32_e32 v17, 0x1400, v2
	;; [unrolled: 1-line block ×6, first 2 shown]
	v_cmp_eq_u32_e32 vcc, s6, v38
	s_waitcnt vmcnt(5)
	ds_write2_b64 v3, v[28:29], v[4:5] offset0:112 offset1:232
	s_waitcnt vmcnt(4)
	ds_write2_b64 v2, v[26:27], v[30:31] offset1:120
	ds_write2_b64 v16, v[8:9], v[10:11] offset0:96 offset1:216
	ds_write2_b64 v17, v[12:13], v[14:15] offset0:80 offset1:200
	;; [unrolled: 1-line block ×4, first 2 shown]
	s_waitcnt vmcnt(2)
	ds_write2_b64 v46, v[6:7], v[32:33] offset0:32 offset1:152
	s_waitcnt vmcnt(0)
	ds_write2_b64 v48, v[34:35], v[42:43] offset0:16 offset1:136
	v_mov_b32_e32 v3, v38
	v_mov_b32_e32 v4, v39
	s_and_saveexec_b64 s[6:7], vcc
	s_cbranch_execz .LBB0_14
; %bb.13:
	v_add_co_u32_e32 v3, vcc, 0x3000, v1
	v_addc_co_u32_e32 v4, vcc, 0, v0, vcc
	global_load_dwordx2 v[0:1], v[3:4], off offset:3072
	v_mov_b32_e32 v3, 0x77
	v_mov_b32_e32 v4, 0
	;; [unrolled: 1-line block ×3, first 2 shown]
	s_waitcnt vmcnt(0)
	ds_write_b64 v2, v[0:1] offset:14408
.LBB0_14:
	s_or_b64 exec, exec, s[6:7]
.LBB0_15:
	s_or_b64 exec, exec, s[4:5]
	v_lshl_add_u32 v46, v49, 3, 0
	v_lshlrev_b32_e32 v0, 3, v38
	v_add_u32_e32 v48, v46, v0
	s_waitcnt lgkmcnt(0)
	s_barrier
	v_sub_u32_e32 v2, v46, v0
	ds_read_b32 v5, v48
	ds_read_b32 v6, v2 offset:15360
	s_add_u32 s6, s12, 0x3bb0
	v_lshlrev_b64 v[42:43], 3, v[3:4]
	s_addc_u32 s7, s13, 0
	v_cmp_ne_u32_e32 vcc, 0, v38
	s_waitcnt lgkmcnt(0)
	v_add_f32_e32 v0, v6, v5
	v_sub_f32_e32 v1, v5, v6
	s_and_saveexec_b64 s[4:5], vcc
	s_xor_b64 s[4:5], exec, s[4:5]
	s_cbranch_execz .LBB0_17
; %bb.16:
	v_mov_b32_e32 v1, s7
	v_add_co_u32_e32 v0, vcc, s6, v42
	v_addc_co_u32_e32 v1, vcc, v1, v43, vcc
	global_load_dwordx2 v[3:4], v[0:1], off
	ds_read_b32 v0, v2 offset:15364
	ds_read_b32 v1, v48 offset:4
	v_add_f32_e32 v7, v6, v5
	v_sub_f32_e32 v8, v5, v6
	s_waitcnt lgkmcnt(0)
	v_add_f32_e32 v9, v0, v1
	v_sub_f32_e32 v0, v1, v0
	s_waitcnt vmcnt(0)
	v_fma_f32 v5, -v8, v4, v7
	v_fma_f32 v6, v9, v4, -v0
	v_fma_f32 v10, v8, v4, v7
	v_fma_f32 v1, v9, v4, v0
	v_fmac_f32_e32 v5, v3, v9
	v_fmac_f32_e32 v6, v8, v3
	v_fma_f32 v0, -v3, v9, v10
	v_fmac_f32_e32 v1, v8, v3
	ds_write_b64 v2, v[5:6] offset:15360
.LBB0_17:
	s_andn2_saveexec_b64 s[4:5], s[4:5]
	s_cbranch_execz .LBB0_19
; %bb.18:
	ds_read_b64 v[3:4], v46 offset:7680
	s_waitcnt lgkmcnt(0)
	v_add_f32_e32 v3, v3, v3
	v_mul_f32_e32 v4, -2.0, v4
	ds_write_b64 v46, v[3:4] offset:7680
.LBB0_19:
	s_or_b64 exec, exec, s[4:5]
	v_mov_b32_e32 v39, 0
	v_lshlrev_b64 v[44:45], 3, v[38:39]
	v_mov_b32_e32 v4, s7
	v_add_co_u32_e32 v3, vcc, s6, v44
	v_addc_co_u32_e32 v4, vcc, v4, v45, vcc
	global_load_dwordx2 v[5:6], v[3:4], off offset:960
	global_load_dwordx2 v[7:8], v[3:4], off offset:1920
	;; [unrolled: 1-line block ×4, first 2 shown]
	s_movk_i32 s4, 0x1000
	v_add_co_u32_e32 v3, vcc, s4, v3
	ds_write_b64 v48, v[0:1]
	v_addc_co_u32_e32 v4, vcc, 0, v4, vcc
	ds_read_b64 v[0:1], v48 offset:960
	ds_read_b64 v[13:14], v2 offset:14400
	global_load_dwordx2 v[15:16], v[3:4], off offset:704
	s_movk_i32 s4, 0x48
	v_cmp_gt_u32_e32 vcc, s4, v38
	s_waitcnt lgkmcnt(0)
	v_add_f32_e32 v17, v0, v13
	v_add_f32_e32 v18, v14, v1
	v_sub_f32_e32 v19, v0, v13
	v_sub_f32_e32 v13, v1, v14
	s_waitcnt vmcnt(4)
	v_fma_f32 v20, v19, v6, v17
	v_fma_f32 v14, v18, v6, v13
	v_fma_f32 v0, -v19, v6, v17
	v_fma_f32 v1, v18, v6, -v13
	v_fma_f32 v13, -v5, v18, v20
	v_fmac_f32_e32 v14, v19, v5
	v_fmac_f32_e32 v0, v5, v18
	;; [unrolled: 1-line block ×3, first 2 shown]
	ds_write_b64 v48, v[13:14] offset:960
	ds_write_b64 v2, v[0:1] offset:14400
	ds_read_b64 v[0:1], v48 offset:1920
	ds_read_b64 v[5:6], v2 offset:13440
	global_load_dwordx2 v[13:14], v[3:4], off offset:1664
	s_waitcnt lgkmcnt(0)
	v_add_f32_e32 v17, v0, v5
	v_add_f32_e32 v18, v6, v1
	v_sub_f32_e32 v19, v0, v5
	v_sub_f32_e32 v5, v1, v6
	s_waitcnt vmcnt(4)
	v_fma_f32 v20, v19, v8, v17
	v_fma_f32 v6, v18, v8, v5
	v_fma_f32 v0, -v19, v8, v17
	v_fma_f32 v1, v18, v8, -v5
	v_fma_f32 v5, -v7, v18, v20
	v_fmac_f32_e32 v6, v19, v7
	v_fmac_f32_e32 v0, v7, v18
	v_fmac_f32_e32 v1, v19, v7
	ds_write_b64 v48, v[5:6] offset:1920
	ds_write_b64 v2, v[0:1] offset:13440
	ds_read_b64 v[0:1], v48 offset:2880
	ds_read_b64 v[5:6], v2 offset:12480
	global_load_dwordx2 v[3:4], v[3:4], off offset:2624
	s_waitcnt lgkmcnt(0)
	v_add_f32_e32 v7, v0, v5
	v_add_f32_e32 v8, v6, v1
	v_sub_f32_e32 v17, v0, v5
	v_sub_f32_e32 v5, v1, v6
	s_waitcnt vmcnt(4)
	v_fma_f32 v18, v17, v10, v7
	v_fma_f32 v6, v8, v10, v5
	v_fma_f32 v0, -v17, v10, v7
	v_fma_f32 v1, v8, v10, -v5
	v_fma_f32 v5, -v9, v8, v18
	v_fmac_f32_e32 v6, v17, v9
	v_fmac_f32_e32 v0, v9, v8
	v_fmac_f32_e32 v1, v17, v9
	ds_write_b64 v48, v[5:6] offset:2880
	ds_write_b64 v2, v[0:1] offset:12480
	ds_read_b64 v[0:1], v48 offset:3840
	ds_read_b64 v[5:6], v2 offset:11520
	s_waitcnt lgkmcnt(0)
	v_add_f32_e32 v7, v0, v5
	v_add_f32_e32 v8, v6, v1
	v_sub_f32_e32 v9, v0, v5
	v_sub_f32_e32 v5, v1, v6
	s_waitcnt vmcnt(3)
	v_fma_f32 v10, v9, v12, v7
	v_fma_f32 v6, v8, v12, v5
	v_fma_f32 v0, -v9, v12, v7
	v_fma_f32 v1, v8, v12, -v5
	v_fma_f32 v5, -v11, v8, v10
	v_fmac_f32_e32 v6, v9, v11
	v_fmac_f32_e32 v0, v11, v8
	v_fmac_f32_e32 v1, v9, v11
	ds_write_b64 v48, v[5:6] offset:3840
	ds_write_b64 v2, v[0:1] offset:11520
	ds_read_b64 v[0:1], v48 offset:4800
	ds_read_b64 v[5:6], v2 offset:10560
	;; [unrolled: 18-line block ×4, first 2 shown]
	v_lshl_add_u32 v7, v38, 3, 0
	v_add_u32_e32 v39, v7, v47
	v_add_u32_e32 v7, 0x800, v39
	;; [unrolled: 1-line block ×3, first 2 shown]
	s_waitcnt lgkmcnt(0)
	v_add_f32_e32 v8, v0, v5
	v_add_f32_e32 v9, v6, v1
	v_sub_f32_e32 v10, v0, v5
	v_sub_f32_e32 v0, v1, v6
	s_waitcnt vmcnt(0)
	v_fma_f32 v11, v10, v4, v8
	v_fma_f32 v1, v9, v4, v0
	v_fma_f32 v5, -v10, v4, v8
	v_fma_f32 v6, v9, v4, -v0
	v_fma_f32 v0, -v3, v9, v11
	v_fmac_f32_e32 v1, v10, v3
	v_fmac_f32_e32 v5, v3, v9
	v_fmac_f32_e32 v6, v10, v3
	v_add_u32_e32 v4, 0x1400, v39
	v_add_u32_e32 v8, 0x2000, v39
	ds_write_b64 v48, v[0:1] offset:6720
	ds_write_b64 v2, v[5:6] offset:8640
	s_waitcnt lgkmcnt(0)
	s_barrier
	s_barrier
	ds_read2_b64 v[0:3], v7 offset0:56 offset1:128
	ds_read2_b64 v[4:7], v4 offset0:56 offset1:128
	ds_read2_b64 v[8:11], v8 offset0:56 offset1:128
	ds_read2_b64 v[12:15], v12 offset0:56 offset1:128
	v_add_u32_e32 v18, 0x2400, v39
	v_add_u32_e32 v19, 0x3000, v39
	s_waitcnt lgkmcnt(2)
	v_sub_f32_e32 v16, v2, v6
	s_waitcnt lgkmcnt(1)
	v_sub_f32_e32 v80, v6, v10
	;; [unrolled: 2-line block ×3, first 2 shown]
	v_add_f32_e32 v50, v16, v17
	v_add_u32_e32 v16, 0xc00, v39
	v_add_u32_e32 v17, 0x1800, v39
	ds_read2_b64 v[20:23], v16 offset0:120 offset1:192
	ds_read2_b64 v[24:27], v17 offset0:120 offset1:192
	;; [unrolled: 1-line block ×4, first 2 shown]
	v_sub_f32_e32 v16, v3, v7
	v_sub_f32_e32 v17, v15, v11
	v_add_f32_e32 v60, v16, v17
	s_waitcnt lgkmcnt(2)
	v_sub_f32_e32 v16, v22, v26
	s_waitcnt lgkmcnt(0)
	v_sub_f32_e32 v17, v30, v34
	v_add_f32_e32 v61, v16, v17
	ds_read2_b64 v[16:19], v39 offset0:120 offset1:192
	v_sub_f32_e32 v51, v23, v27
	v_sub_f32_e32 v52, v31, v35
	v_add_f32_e32 v62, v51, v52
	v_add_f32_e32 v51, v26, v34
	;; [unrolled: 1-line block ×3, first 2 shown]
	s_waitcnt lgkmcnt(0)
	v_fma_f32 v63, -0.5, v51, v18
	v_fma_f32 v66, -0.5, v52, v19
	v_sub_f32_e32 v64, v23, v31
	v_mov_b32_e32 v51, v63
	v_sub_f32_e32 v67, v22, v30
	v_mov_b32_e32 v54, v66
	ds_read_b64 v[52:53], v48
	v_fmac_f32_e32 v51, 0xbf737871, v64
	v_sub_f32_e32 v65, v27, v35
	v_fmac_f32_e32 v54, 0x3f737871, v67
	v_sub_f32_e32 v68, v26, v34
	v_fmac_f32_e32 v51, 0xbf167918, v65
	v_fmac_f32_e32 v54, 0x3f167918, v68
	v_fmac_f32_e32 v51, 0x3e9e377a, v61
	v_fmac_f32_e32 v54, 0x3e9e377a, v62
	v_mul_f32_e32 v69, 0xbf167918, v54
	v_mul_f32_e32 v70, 0x3f167918, v51
	v_fmac_f32_e32 v69, 0x3f4f1bbd, v51
	v_fmac_f32_e32 v70, 0x3f4f1bbd, v54
	ds_read_b64 v[54:55], v39 offset:14784
	s_waitcnt lgkmcnt(1)
	v_add_f32_e32 v51, v52, v2
	v_add_f32_e32 v51, v51, v6
	;; [unrolled: 1-line block ×5, first 2 shown]
	v_fma_f32 v72, -0.5, v51, v52
	v_add_f32_e32 v51, v53, v3
	v_add_f32_e32 v51, v51, v7
	;; [unrolled: 1-line block ×3, first 2 shown]
	v_sub_f32_e32 v78, v2, v14
	v_sub_f32_e32 v6, v6, v2
	;; [unrolled: 1-line block ×3, first 2 shown]
	v_add_f32_e32 v2, v2, v14
	v_add_f32_e32 v76, v51, v15
	;; [unrolled: 1-line block ×4, first 2 shown]
	v_fma_f32 v10, -0.5, v2, v52
	v_add_f32_e32 v2, v3, v15
	v_fma_f32 v77, -0.5, v51, v53
	v_fmac_f32_e32 v53, -0.5, v2
	v_sub_f32_e32 v73, v3, v15
	v_sub_f32_e32 v75, v7, v11
	;; [unrolled: 1-line block ×4, first 2 shown]
	v_mov_b32_e32 v11, v53
	v_fmac_f32_e32 v11, 0xbf737871, v80
	v_fmac_f32_e32 v53, 0x3f737871, v80
	v_add_f32_e32 v2, v2, v3
	v_fmac_f32_e32 v11, 0x3f167918, v78
	v_fmac_f32_e32 v53, 0xbf167918, v78
	v_mov_b32_e32 v14, v10
	v_fmac_f32_e32 v11, 0x3e9e377a, v2
	v_fmac_f32_e32 v53, 0x3e9e377a, v2
	v_sub_f32_e32 v2, v26, v22
	v_sub_f32_e32 v3, v34, v30
	v_fmac_f32_e32 v14, 0x3f737871, v75
	v_fmac_f32_e32 v10, 0xbf737871, v75
	v_add_f32_e32 v2, v2, v3
	v_add_f32_e32 v3, v22, v30
	v_fmac_f32_e32 v14, 0xbf167918, v73
	v_fmac_f32_e32 v10, 0x3f167918, v73
	v_fma_f32 v3, -0.5, v3, v18
	v_fmac_f32_e32 v14, 0x3e9e377a, v6
	v_fmac_f32_e32 v10, 0x3e9e377a, v6
	v_mov_b32_e32 v6, v3
	v_fmac_f32_e32 v6, 0x3f737871, v65
	v_fmac_f32_e32 v3, 0xbf737871, v65
	;; [unrolled: 1-line block ×6, first 2 shown]
	v_sub_f32_e32 v2, v27, v23
	v_sub_f32_e32 v7, v35, v31
	v_add_f32_e32 v51, v18, v22
	v_add_f32_e32 v2, v2, v7
	;; [unrolled: 1-line block ×4, first 2 shown]
	v_fma_f32 v7, -0.5, v7, v19
	v_add_f32_e32 v51, v51, v34
	v_mov_b32_e32 v15, v7
	v_add_f32_e32 v81, v51, v30
	v_add_f32_e32 v51, v19, v23
	v_fmac_f32_e32 v15, 0xbf737871, v68
	v_fmac_f32_e32 v7, 0x3f737871, v68
	v_add_f32_e32 v51, v51, v27
	v_fmac_f32_e32 v15, 0x3f167918, v67
	v_fmac_f32_e32 v7, 0xbf167918, v67
	;; [unrolled: 1-line block ×3, first 2 shown]
	v_add_f32_e32 v51, v51, v35
	v_fmac_f32_e32 v15, 0x3e9e377a, v2
	v_fmac_f32_e32 v7, 0x3e9e377a, v2
	;; [unrolled: 1-line block ×4, first 2 shown]
	v_mov_b32_e32 v74, v72
	v_mov_b32_e32 v79, v77
	v_add_f32_e32 v82, v51, v31
	v_mul_u32_u24_e32 v51, 10, v38
	v_mul_f32_e32 v18, 0xbf737871, v15
	v_mul_f32_e32 v15, 0x3e9e377a, v15
	;; [unrolled: 1-line block ×4, first 2 shown]
	v_fmac_f32_e32 v72, 0x3f737871, v73
	v_fmac_f32_e32 v77, 0xbf737871, v78
	;; [unrolled: 1-line block ×6, first 2 shown]
	v_lshl_add_u32 v51, v51, 3, 0
	v_fmac_f32_e32 v18, 0x3e9e377a, v6
	v_fmac_f32_e32 v15, 0x3f737871, v6
	v_fmac_f32_e32 v19, 0xbe9e377a, v3
	v_fmac_f32_e32 v22, 0x3f737871, v3
	v_fmac_f32_e32 v72, 0x3f167918, v75
	v_fmac_f32_e32 v77, 0xbf167918, v80
	v_fmac_f32_e32 v63, 0x3e9e377a, v61
	v_mul_f32_e32 v23, 0xbf167918, v66
	v_mul_f32_e32 v26, 0xbf4f1bbd, v66
	v_fmac_f32_e32 v74, 0xbf167918, v75
	v_fmac_f32_e32 v79, 0x3f167918, v80
	v_add_u32_e32 v83, v51, v47
	v_add_f32_e32 v2, v14, v18
	v_add_f32_e32 v3, v11, v15
	;; [unrolled: 1-line block ×4, first 2 shown]
	v_fmac_f32_e32 v72, 0x3e9e377a, v50
	v_fmac_f32_e32 v77, 0x3e9e377a, v60
	;; [unrolled: 1-line block ×6, first 2 shown]
	s_waitcnt lgkmcnt(0)
	s_barrier
	ds_write2_b64 v83, v[2:3], v[6:7] offset0:2 offset1:3
	v_sub_f32_e32 v2, v71, v81
	v_sub_f32_e32 v3, v76, v82
	v_add_f32_e32 v6, v72, v23
	v_add_f32_e32 v7, v77, v26
	ds_write2_b64 v83, v[6:7], v[2:3] offset0:4 offset1:5
	v_sub_f32_e32 v2, v74, v69
	v_sub_f32_e32 v3, v79, v70
	;; [unrolled: 1-line block ×4, first 2 shown]
	ds_write2_b64 v83, v[2:3], v[6:7] offset0:6 offset1:7
	v_sub_f32_e32 v3, v53, v22
	v_sub_f32_e32 v2, v10, v19
	;; [unrolled: 1-line block ×4, first 2 shown]
	ds_write2_b64 v83, v[2:3], v[6:7] offset0:8 offset1:9
	v_add_f32_e32 v2, v16, v20
	v_add_f32_e32 v3, v17, v21
	;; [unrolled: 1-line block ×14, first 2 shown]
	v_sub_f32_e32 v22, v20, v24
	v_sub_f32_e32 v6, v24, v20
	v_add_f32_e32 v27, v20, v28
	v_sub_f32_e32 v30, v20, v28
	v_sub_f32_e32 v31, v28, v32
	v_sub_f32_e32 v20, v32, v28
	v_add_f32_e32 v2, v2, v8
	v_add_f32_e32 v3, v3, v9
	v_sub_f32_e32 v28, v9, v13
	v_add_f32_e32 v19, v9, v13
	v_sub_f32_e32 v35, v5, v9
	v_sub_f32_e32 v9, v9, v5
	;; [unrolled: 1-line block ×3, first 2 shown]
	v_add_f32_e32 v5, v5, v55
	ds_write2_b64 v83, v[56:57], v[58:59] offset1:1
	v_add_f32_e32 v10, v24, v32
	v_sub_f32_e32 v11, v25, v33
	v_add_f32_e32 v7, v25, v33
	v_sub_f32_e32 v24, v24, v32
	v_sub_f32_e32 v23, v21, v25
	;; [unrolled: 1-line block ×4, first 2 shown]
	v_add_f32_e32 v21, v21, v29
	v_sub_f32_e32 v32, v29, v33
	v_sub_f32_e32 v33, v33, v29
	v_add_f32_e32 v18, v8, v12
	v_sub_f32_e32 v29, v4, v8
	v_sub_f32_e32 v34, v8, v4
	;; [unrolled: 1-line block ×3, first 2 shown]
	v_add_f32_e32 v52, v4, v54
	v_add_f32_e32 v2, v2, v12
	v_sub_f32_e32 v53, v54, v12
	v_sub_f32_e32 v56, v12, v54
	;; [unrolled: 1-line block ×3, first 2 shown]
	v_fma_f32 v58, -0.5, v19, v1
	v_fmac_f32_e32 v1, -0.5, v5
	v_sub_f32_e32 v4, v4, v54
	v_add_f32_e32 v5, v9, v12
	v_fma_f32 v9, -0.5, v18, v0
	v_fma_f32 v52, -0.5, v52, v0
	v_mov_b32_e32 v0, v1
	v_fmac_f32_e32 v1, 0x3f737871, v8
	v_fmac_f32_e32 v1, 0xbf167918, v4
	;; [unrolled: 1-line block ×3, first 2 shown]
	v_add_f32_e32 v3, v3, v13
	v_sub_f32_e32 v57, v55, v13
	v_mul_f32_e32 v13, 0xbf737871, v1
	v_mul_f32_e32 v19, 0xbe9e377a, v1
	v_add_f32_e32 v12, v2, v54
	v_add_f32_e32 v2, v6, v20
	v_fma_f32 v20, -0.5, v7, v17
	v_fmac_f32_e32 v17, -0.5, v21
	v_fmac_f32_e32 v0, 0xbf737871, v8
	v_mov_b32_e32 v1, v52
	v_fma_f32 v21, -0.5, v27, v16
	v_fmac_f32_e32 v0, 0x3f167918, v4
	v_fmac_f32_e32 v1, 0x3f737871, v28
	v_mov_b32_e32 v6, v21
	v_add_f32_e32 v18, v3, v55
	v_add_f32_e32 v3, v25, v33
	v_add_f32_e32 v25, v34, v56
	v_fmac_f32_e32 v0, 0x3e9e377a, v5
	v_fmac_f32_e32 v1, 0xbf167918, v50
	;; [unrolled: 1-line block ×4, first 2 shown]
	v_mul_f32_e32 v5, 0xbf737871, v0
	v_fmac_f32_e32 v6, 0xbf167918, v26
	v_fmac_f32_e32 v5, 0x3e9e377a, v1
	;; [unrolled: 1-line block ×3, first 2 shown]
	v_mul_f32_e32 v7, 0x3e9e377a, v0
	v_mov_b32_e32 v27, v17
	v_add_f32_e32 v0, v6, v5
	v_sub_f32_e32 v6, v6, v5
	v_add_f32_e32 v5, v22, v31
	v_fma_f32 v22, -0.5, v10, v16
	v_fmac_f32_e32 v21, 0xbf737871, v11
	v_fmac_f32_e32 v27, 0xbf737871, v24
	v_mov_b32_e32 v16, v22
	v_fmac_f32_e32 v21, 0x3f167918, v26
	v_fmac_f32_e32 v17, 0x3f737871, v24
	;; [unrolled: 1-line block ×6, first 2 shown]
	v_add_f32_e32 v2, v23, v32
	v_mov_b32_e32 v23, v20
	v_fmac_f32_e32 v17, 0xbf167918, v30
	v_fmac_f32_e32 v27, 0x3e9e377a, v3
	;; [unrolled: 1-line block ×7, first 2 shown]
	v_mov_b32_e32 v3, v9
	v_fmac_f32_e32 v16, 0x3e9e377a, v5
	v_fmac_f32_e32 v22, 0x3e9e377a, v5
	;; [unrolled: 1-line block ×6, first 2 shown]
	v_mov_b32_e32 v5, v58
	v_fmac_f32_e32 v23, 0x3e9e377a, v2
	v_fmac_f32_e32 v20, 0x3e9e377a, v2
	v_add_f32_e32 v2, v29, v53
	v_fmac_f32_e32 v3, 0xbf167918, v28
	v_fmac_f32_e32 v9, 0x3f167918, v28
	;; [unrolled: 1-line block ×7, first 2 shown]
	v_add_f32_e32 v2, v35, v57
	v_fmac_f32_e32 v5, 0x3f167918, v8
	v_fmac_f32_e32 v58, 0xbf167918, v8
	;; [unrolled: 1-line block ×6, first 2 shown]
	v_add_f32_e32 v1, v27, v7
	v_sub_f32_e32 v7, v27, v7
	v_fmac_f32_e32 v52, 0x3e9e377a, v25
	v_mul_f32_e32 v24, 0xbf167918, v5
	v_mul_f32_e32 v25, 0x3f167918, v3
	;; [unrolled: 1-line block ×4, first 2 shown]
	v_fmac_f32_e32 v24, 0x3f4f1bbd, v3
	v_fmac_f32_e32 v25, 0x3f4f1bbd, v5
	;; [unrolled: 1-line block ×6, first 2 shown]
	v_add_f32_e32 v2, v21, v13
	v_add_f32_e32 v3, v17, v19
	;; [unrolled: 1-line block ×4, first 2 shown]
	v_sub_f32_e32 v10, v14, v12
	v_sub_f32_e32 v4, v16, v24
	;; [unrolled: 1-line block ×4, first 2 shown]
	s_and_saveexec_b64 s[4:5], vcc
	s_cbranch_execz .LBB0_21
; %bb.20:
	v_add_f32_e32 v12, v14, v12
	v_lshl_add_u32 v14, v49, 3, v51
	v_sub_f32_e32 v20, v20, v27
	v_sub_f32_e32 v27, v17, v19
	;; [unrolled: 1-line block ×4, first 2 shown]
	v_add_f32_e32 v17, v23, v25
	v_add_f32_e32 v13, v15, v18
	;; [unrolled: 1-line block ×3, first 2 shown]
	v_add_u32_e32 v15, 0x2580, v14
	ds_write2_b64 v15, v[12:13], v[16:17] offset1:1
	v_add_u32_e32 v12, 0x2590, v14
	ds_write2_b64 v12, v[0:1], v[2:3] offset1:1
	;; [unrolled: 2-line block ×5, first 2 shown]
.LBB0_21:
	s_or_b64 exec, exec, s[4:5]
	v_add_u32_e32 v12, 0x300, v39
	v_add_u32_e32 v16, 0xd00, v39
	;; [unrolled: 1-line block ×5, first 2 shown]
	s_waitcnt lgkmcnt(0)
	s_barrier
	ds_read2_b64 v[12:15], v12 offset0:24 offset1:224
	ds_read2_b64 v[16:19], v16 offset0:24 offset1:224
	;; [unrolled: 1-line block ×5, first 2 shown]
	ds_read_b64 v[32:33], v48
	ds_read_b64 v[34:35], v39 offset:13760
	s_movk_i32 s4, 0x50
	v_cmp_gt_u32_e32 vcc, s4, v38
	s_and_saveexec_b64 s[4:5], vcc
	s_cbranch_execz .LBB0_23
; %bb.22:
	v_add_u32_e32 v4, 0x180, v39
	ds_read2st64_b64 v[0:3], v4 offset0:3 offset1:8
	ds_read2st64_b64 v[8:11], v4 offset0:13 offset1:18
	;; [unrolled: 1-line block ×3, first 2 shown]
.LBB0_23:
	s_or_b64 exec, exec, s[4:5]
	s_movk_i32 s4, 0xcd
	v_mul_lo_u16_sdwa v49, v38, s4 dst_sel:DWORD dst_unused:UNUSED_PAD src0_sel:BYTE_0 src1_sel:DWORD
	v_lshrrev_b16_e32 v69, 11, v49
	v_add_u16_e32 v59, 0x78, v38
	v_mul_lo_u16_e32 v49, 10, v69
	v_mul_lo_u16_sdwa v60, v59, s4 dst_sel:DWORD dst_unused:UNUSED_PAD src0_sel:BYTE_0 src1_sel:DWORD
	v_sub_u16_e32 v70, v38, v49
	v_mov_b32_e32 v57, 5
	v_lshrrev_b16_e32 v71, 11, v60
	v_mul_u32_u24_sdwa v49, v70, v57 dst_sel:DWORD dst_unused:UNUSED_PAD src0_sel:BYTE_0 src1_sel:DWORD
	v_mul_lo_u16_e32 v60, 10, v71
	v_lshlrev_b32_e32 v58, 3, v49
	v_sub_u16_e32 v72, v59, v60
	global_load_dwordx4 v[49:52], v58, s[12:13]
	global_load_dwordx4 v[53:56], v58, s[12:13] offset:16
	v_mul_u32_u24_sdwa v57, v72, v57 dst_sel:DWORD dst_unused:UNUSED_PAD src0_sel:BYTE_0 src1_sel:DWORD
	global_load_dwordx2 v[65:66], v58, s[12:13] offset:32
	v_lshlrev_b32_e32 v73, 3, v57
	global_load_dwordx4 v[57:60], v73, s[12:13]
	global_load_dwordx4 v[61:64], v73, s[12:13] offset:16
	global_load_dwordx2 v[67:68], v73, s[12:13] offset:32
	s_movk_i32 s4, 0x1e0
	s_waitcnt vmcnt(0) lgkmcnt(0)
	s_barrier
	v_mul_f32_e32 v73, v50, v15
	v_mul_f32_e32 v50, v50, v14
	;; [unrolled: 1-line block ×12, first 2 shown]
	v_fmac_f32_e32 v73, v49, v14
	v_fma_f32 v49, v49, v15, -v50
	v_fma_f32 v14, v51, v19, -v52
	;; [unrolled: 1-line block ×4, first 2 shown]
	v_mul_f32_e32 v79, v60, v21
	v_mul_f32_e32 v60, v60, v20
	v_fmac_f32_e32 v74, v51, v18
	v_fmac_f32_e32 v75, v53, v22
	v_fma_f32 v18, v55, v27, -v56
	v_fmac_f32_e32 v77, v65, v30
	v_fma_f32 v27, v61, v25, -v62
	v_sub_f32_e32 v25, v15, v19
	v_add_f32_e32 v30, v49, v15
	v_add_f32_e32 v15, v15, v19
	v_mul_f32_e32 v78, v58, v17
	v_mul_f32_e32 v58, v58, v16
	;; [unrolled: 1-line block ×3, first 2 shown]
	v_fmac_f32_e32 v76, v55, v26
	v_fmac_f32_e32 v79, v59, v20
	v_fma_f32 v26, v59, v21, -v60
	v_fmac_f32_e32 v80, v61, v24
	v_sub_f32_e32 v20, v14, v18
	v_add_f32_e32 v21, v33, v14
	v_add_f32_e32 v14, v14, v18
	;; [unrolled: 1-line block ×3, first 2 shown]
	v_fmac_f32_e32 v49, -0.5, v15
	v_mul_f32_e32 v68, v34, v68
	v_fma_f32 v31, v57, v17, -v58
	v_fmac_f32_e32 v82, v34, v67
	v_add_f32_e32 v17, v74, v76
	v_add_f32_e32 v23, v73, v75
	v_sub_f32_e32 v34, v75, v77
	v_fmac_f32_e32 v33, -0.5, v14
	v_fmac_f32_e32 v73, -0.5, v24
	v_add_f32_e32 v30, v30, v19
	v_mov_b32_e32 v19, v49
	v_fmac_f32_e32 v78, v57, v16
	v_add_f32_e32 v16, v32, v74
	v_sub_f32_e32 v22, v74, v76
	v_fma_f32 v32, -0.5, v17, v32
	v_mov_b32_e32 v50, v33
	v_mov_b32_e32 v17, v73
	v_fmac_f32_e32 v49, 0xbf5db3d7, v34
	v_fmac_f32_e32 v19, 0x3f5db3d7, v34
	v_mul_f32_e32 v81, v29, v64
	v_add_f32_e32 v21, v21, v18
	v_mov_b32_e32 v24, v32
	v_fmac_f32_e32 v33, 0xbf5db3d7, v22
	v_fmac_f32_e32 v73, 0x3f5db3d7, v25
	;; [unrolled: 1-line block ×4, first 2 shown]
	v_mul_f32_e32 v22, 0xbf5db3d7, v19
	v_mul_f32_e32 v25, 0xbf5db3d7, v49
	v_mul_f32_e32 v64, v28, v64
	v_fmac_f32_e32 v81, v28, v63
	v_fmac_f32_e32 v32, 0x3f5db3d7, v20
	;; [unrolled: 1-line block ×3, first 2 shown]
	v_fmac_f32_e32 v22, 0.5, v17
	v_fmac_f32_e32 v25, -0.5, v73
	v_add_f32_e32 v15, v21, v30
	v_sub_f32_e32 v21, v21, v30
	v_add_f32_e32 v30, v12, v79
	v_fma_f32 v28, v29, v63, -v64
	v_fma_f32 v29, v35, v67, -v68
	v_add_f32_e32 v35, v16, v76
	v_add_f32_e32 v16, v24, v22
	;; [unrolled: 1-line block ×3, first 2 shown]
	v_mul_f32_e32 v49, -0.5, v49
	v_sub_f32_e32 v22, v24, v22
	v_sub_f32_e32 v24, v32, v25
	v_add_f32_e32 v32, v30, v81
	v_add_f32_e32 v30, v79, v81
	v_fmac_f32_e32 v49, 0x3f5db3d7, v73
	v_fma_f32 v12, -0.5, v30, v12
	v_mul_f32_e32 v34, 0.5, v19
	v_add_f32_e32 v19, v33, v49
	v_sub_f32_e32 v25, v33, v49
	v_sub_f32_e32 v30, v26, v28
	v_mov_b32_e32 v33, v12
	v_fmac_f32_e32 v33, 0xbf5db3d7, v30
	v_fmac_f32_e32 v12, 0x3f5db3d7, v30
	v_add_f32_e32 v30, v13, v26
	v_add_f32_e32 v26, v26, v28
	v_fmac_f32_e32 v13, -0.5, v26
	v_sub_f32_e32 v26, v79, v81
	v_mov_b32_e32 v49, v13
	v_add_f32_e32 v23, v23, v77
	v_fmac_f32_e32 v34, 0x3f5db3d7, v17
	v_fmac_f32_e32 v49, 0x3f5db3d7, v26
	;; [unrolled: 1-line block ×3, first 2 shown]
	v_add_f32_e32 v26, v78, v80
	v_add_f32_e32 v14, v35, v23
	v_add_f32_e32 v17, v50, v34
	v_sub_f32_e32 v20, v35, v23
	v_sub_f32_e32 v23, v50, v34
	v_add_f32_e32 v34, v26, v82
	v_add_f32_e32 v26, v80, v82
	v_fmac_f32_e32 v78, -0.5, v26
	v_sub_f32_e32 v26, v27, v29
	v_mov_b32_e32 v50, v78
	v_fmac_f32_e32 v50, 0xbf5db3d7, v26
	v_fmac_f32_e32 v78, 0x3f5db3d7, v26
	v_add_f32_e32 v26, v31, v27
	v_add_f32_e32 v51, v26, v29
	;; [unrolled: 1-line block ×3, first 2 shown]
	v_fmac_f32_e32 v31, -0.5, v26
	v_sub_f32_e32 v26, v80, v82
	v_mov_b32_e32 v29, v31
	v_fmac_f32_e32 v29, 0x3f5db3d7, v26
	v_fmac_f32_e32 v31, 0xbf5db3d7, v26
	v_mul_f32_e32 v52, 0xbf5db3d7, v29
	v_mul_f32_e32 v54, 0.5, v29
	v_fmac_f32_e32 v52, 0.5, v50
	v_fmac_f32_e32 v54, 0x3f5db3d7, v50
	v_mul_f32_e32 v50, -0.5, v31
	v_fmac_f32_e32 v50, 0x3f5db3d7, v78
	v_add_f32_e32 v35, v30, v28
	v_mul_f32_e32 v53, 0xbf5db3d7, v31
	v_add_f32_e32 v31, v13, v50
	v_sub_f32_e32 v13, v13, v50
	v_mov_b32_e32 v50, 3
	v_add_f32_e32 v26, v32, v34
	v_add_f32_e32 v28, v33, v52
	;; [unrolled: 1-line block ×4, first 2 shown]
	v_sub_f32_e32 v32, v32, v34
	v_sub_f32_e32 v34, v33, v52
	v_sub_f32_e32 v33, v35, v51
	v_sub_f32_e32 v35, v49, v54
	v_mad_u32_u24 v49, v69, s4, 0
	v_lshlrev_b32_sdwa v51, v50, v70 dst_sel:DWORD dst_unused:UNUSED_PAD src0_sel:DWORD src1_sel:BYTE_0
	v_add3_u32 v49, v49, v51, v47
	ds_write2_b64 v49, v[14:15], v[16:17] offset1:10
	ds_write2_b64 v49, v[18:19], v[20:21] offset0:20 offset1:30
	ds_write2_b64 v49, v[22:23], v[24:25] offset0:40 offset1:50
	v_mad_u32_u24 v14, v71, s4, 0
	v_lshlrev_b32_sdwa v15, v50, v72 dst_sel:DWORD dst_unused:UNUSED_PAD src0_sel:DWORD src1_sel:BYTE_0
	v_fmac_f32_e32 v53, -0.5, v78
	v_add3_u32 v14, v14, v15, v47
	v_add_f32_e32 v30, v12, v53
	v_sub_f32_e32 v12, v12, v53
	ds_write2_b64 v14, v[26:27], v[28:29] offset1:10
	ds_write2_b64 v14, v[30:31], v[32:33] offset0:20 offset1:30
	ds_write2_b64 v14, v[34:35], v[12:13] offset0:40 offset1:50
	s_and_saveexec_b64 s[4:5], vcc
	s_cbranch_execz .LBB0_25
; %bb.24:
	v_add_u32_e32 v12, 0xf0, v38
	s_mov_b32 s6, 0xcccd
	v_mul_u32_u24_sdwa v13, v12, s6 dst_sel:DWORD dst_unused:UNUSED_PAD src0_sel:WORD_0 src1_sel:DWORD
	v_lshrrev_b32_e32 v22, 19, v13
	v_mul_lo_u16_e32 v13, 10, v22
	v_sub_u16_e32 v23, v12, v13
	v_mul_u32_u24_e32 v12, 5, v23
	v_lshlrev_b32_e32 v24, 3, v12
	global_load_dwordx4 v[12:15], v24, s[12:13]
	global_load_dwordx4 v[16:19], v24, s[12:13] offset:16
	global_load_dwordx2 v[20:21], v24, s[12:13] offset:32
	v_mul_lo_u16_e32 v22, 60, v22
	v_lshlrev_b32_e32 v22, 3, v22
	v_lshl_add_u32 v23, v23, 3, 0
	v_add3_u32 v22, v23, v22, v47
	s_waitcnt vmcnt(2)
	v_mul_f32_e32 v23, v8, v15
	s_waitcnt vmcnt(1)
	v_mul_f32_e32 v24, v4, v19
	v_mul_f32_e32 v15, v9, v15
	;; [unrolled: 1-line block ×5, first 2 shown]
	s_waitcnt vmcnt(0)
	v_mul_f32_e32 v27, v7, v21
	v_mul_f32_e32 v17, v10, v17
	;; [unrolled: 1-line block ×4, first 2 shown]
	v_fma_f32 v9, v9, v14, -v23
	v_fma_f32 v5, v5, v18, -v24
	v_fmac_f32_e32 v15, v8, v14
	v_fmac_f32_e32 v19, v4, v18
	;; [unrolled: 1-line block ×3, first 2 shown]
	v_fma_f32 v2, v11, v16, -v17
	v_fma_f32 v4, v7, v20, -v21
	v_fmac_f32_e32 v26, v10, v16
	v_fmac_f32_e32 v27, v6, v20
	v_fma_f32 v3, v3, v12, -v13
	v_add_f32_e32 v6, v9, v5
	v_add_f32_e32 v11, v2, v4
	;; [unrolled: 1-line block ×5, first 2 shown]
	v_sub_f32_e32 v10, v2, v4
	v_sub_f32_e32 v12, v26, v27
	v_add_f32_e32 v2, v3, v2
	v_add_f32_e32 v16, v25, v26
	v_fma_f32 v6, -0.5, v6, v1
	v_fma_f32 v11, -0.5, v11, v3
	v_add_f32_e32 v3, v13, v5
	v_fma_f32 v13, -0.5, v14, v0
	v_sub_f32_e32 v7, v15, v19
	v_sub_f32_e32 v9, v9, v5
	v_add_f32_e32 v15, v0, v15
	v_fma_f32 v8, -0.5, v8, v25
	v_add_f32_e32 v5, v16, v27
	v_mov_b32_e32 v14, v6
	v_mov_b32_e32 v16, v11
	v_fmac_f32_e32 v11, 0x3f5db3d7, v12
	v_mov_b32_e32 v17, v13
	v_add_f32_e32 v2, v2, v4
	v_add_f32_e32 v4, v15, v19
	v_mov_b32_e32 v15, v8
	v_fmac_f32_e32 v6, 0x3f5db3d7, v7
	v_fmac_f32_e32 v8, 0xbf5db3d7, v10
	;; [unrolled: 1-line block ×5, first 2 shown]
	v_mul_f32_e32 v7, 0.5, v11
	v_fmac_f32_e32 v17, 0x3f5db3d7, v9
	v_mul_f32_e32 v9, 0xbf5db3d7, v11
	v_fmac_f32_e32 v15, 0x3f5db3d7, v10
	v_mul_f32_e32 v10, -0.5, v16
	v_fmac_f32_e32 v7, 0x3f5db3d7, v8
	v_mul_f32_e32 v12, 0xbf5db3d7, v16
	v_fmac_f32_e32 v9, 0.5, v8
	v_sub_f32_e32 v1, v3, v2
	v_sub_f32_e32 v0, v4, v5
	v_add_f32_e32 v3, v3, v2
	v_add_f32_e32 v2, v4, v5
	v_fmac_f32_e32 v10, 0x3f5db3d7, v15
	v_sub_f32_e32 v5, v6, v7
	v_fmac_f32_e32 v12, -0.5, v15
	v_add_f32_e32 v7, v6, v7
	v_add_f32_e32 v6, v13, v9
	v_sub_f32_e32 v4, v13, v9
	v_sub_f32_e32 v9, v14, v10
	;; [unrolled: 1-line block ×3, first 2 shown]
	v_add_f32_e32 v11, v14, v10
	v_add_f32_e32 v10, v17, v12
	ds_write2_b64 v22, v[2:3], v[6:7] offset1:10
	ds_write2_b64 v22, v[10:11], v[0:1] offset0:20 offset1:30
	ds_write2_b64 v22, v[4:5], v[8:9] offset0:40 offset1:50
.LBB0_25:
	s_or_b64 exec, exec, s[4:5]
	v_subrev_u32_e32 v0, 60, v38
	v_cmp_gt_u32_e32 vcc, 60, v38
	v_cndmask_b32_e32 v35, v0, v38, vcc
	v_mul_i32_i24_e32 v0, 15, v35
	v_mov_b32_e32 v1, 0
	v_lshlrev_b64 v[2:3], 3, v[0:1]
	v_mov_b32_e32 v71, s13
	v_add_co_u32_e32 v31, vcc, s12, v2
	v_addc_co_u32_e32 v32, vcc, v71, v3, vcc
	s_waitcnt lgkmcnt(0)
	s_barrier
	global_load_dwordx4 v[3:6], v[31:32], off offset:400
	global_load_dwordx4 v[7:10], v[31:32], off offset:416
	;; [unrolled: 1-line block ×7, first 2 shown]
	global_load_dwordx2 v[65:66], v[31:32], off offset:512
	ds_read2_b64 v[31:34], v39 offset0:120 offset1:240
	v_add_u32_e32 v72, 0x800, v39
	v_add_u32_e32 v73, 0x1000, v39
	;; [unrolled: 1-line block ×4, first 2 shown]
	ds_read_b64 v[67:68], v48
	ds_read_b64 v[69:70], v39 offset:14400
	ds_read2_b64 v[49:52], v72 offset0:104 offset1:224
	ds_read2_b64 v[53:56], v73 offset0:88 offset1:208
	;; [unrolled: 1-line block ×4, first 2 shown]
	v_add_u32_e32 v2, 0x2800, v39
	v_add_u32_e32 v0, 0x3000, v39
	v_cmp_lt_u32_e32 vcc, 59, v38
	s_movk_i32 s5, 0x1000
	s_movk_i32 s4, 0x2000
	s_waitcnt vmcnt(7) lgkmcnt(6)
	v_mul_f32_e32 v76, v4, v32
	v_mul_f32_e32 v4, v4, v31
	;; [unrolled: 1-line block ×4, first 2 shown]
	v_fmac_f32_e32 v76, v3, v31
	v_fma_f32 v31, v3, v32, -v4
	v_fmac_f32_e32 v77, v5, v33
	v_fma_f32 v32, v5, v34, -v6
	ds_read2_b64 v[3:6], v2 offset0:40 offset1:160
	s_waitcnt vmcnt(6) lgkmcnt(4)
	v_mul_f32_e32 v33, v8, v50
	v_mul_f32_e32 v8, v8, v49
	;; [unrolled: 1-line block ×4, first 2 shown]
	v_fmac_f32_e32 v33, v7, v49
	v_fma_f32 v49, v7, v50, -v8
	v_fmac_f32_e32 v34, v51, v9
	v_fma_f32 v50, v52, v9, -v10
	ds_read2_b64 v[7:10], v0 offset0:24 offset1:144
	s_waitcnt vmcnt(5) lgkmcnt(4)
	v_mul_f32_e32 v51, v54, v12
	v_mul_f32_e32 v12, v53, v12
	;; [unrolled: 1-line block ×4, first 2 shown]
	s_waitcnt vmcnt(4) lgkmcnt(3)
	v_mul_f32_e32 v78, v58, v16
	v_mul_f32_e32 v16, v57, v16
	;; [unrolled: 1-line block ×3, first 2 shown]
	v_fmac_f32_e32 v51, v53, v11
	v_fma_f32 v11, v54, v11, -v12
	v_fmac_f32_e32 v52, v55, v13
	v_fma_f32 v12, v56, v13, -v14
	v_mul_f32_e32 v13, v59, v18
	s_waitcnt vmcnt(2) lgkmcnt(1)
	v_mul_f32_e32 v53, v4, v24
	v_mul_f32_e32 v24, v3, v24
	;; [unrolled: 1-line block ×3, first 2 shown]
	v_fmac_f32_e32 v78, v57, v15
	v_fma_f32 v15, v58, v15, -v16
	v_mul_f32_e32 v16, v5, v26
	v_mul_f32_e32 v18, v61, v20
	v_fmac_f32_e32 v79, v59, v17
	v_fma_f32 v13, v60, v17, -v13
	s_waitcnt vmcnt(1) lgkmcnt(0)
	v_mul_f32_e32 v17, v8, v28
	v_fmac_f32_e32 v53, v3, v23
	v_fma_f32 v3, v4, v23, -v24
	v_fmac_f32_e32 v54, v5, v25
	v_fma_f32 v4, v6, v25, -v16
	v_mul_f32_e32 v5, v7, v28
	v_mul_f32_e32 v6, v10, v30
	;; [unrolled: 1-line block ×5, first 2 shown]
	v_fma_f32 v18, v62, v19, -v18
	v_fmac_f32_e32 v17, v7, v27
	v_fma_f32 v5, v8, v27, -v5
	v_fmac_f32_e32 v6, v9, v29
	v_mul_f32_e32 v7, v9, v30
	s_waitcnt vmcnt(0)
	v_mul_f32_e32 v8, v70, v66
	v_mul_f32_e32 v9, v69, v66
	v_fmac_f32_e32 v14, v61, v19
	v_fmac_f32_e32 v20, v63, v21
	v_fma_f32 v19, v64, v21, -v22
	v_fmac_f32_e32 v8, v69, v65
	v_fma_f32 v9, v70, v65, -v9
	v_sub_f32_e32 v13, v68, v13
	v_sub_f32_e32 v22, v34, v54
	;; [unrolled: 1-line block ×3, first 2 shown]
	v_fma_f32 v7, v10, v29, -v7
	v_sub_f32_e32 v10, v67, v79
	v_sub_f32_e32 v4, v50, v4
	v_fma_f32 v23, v34, 2.0, -v22
	v_sub_f32_e32 v20, v77, v20
	v_sub_f32_e32 v19, v32, v19
	;; [unrolled: 1-line block ×4, first 2 shown]
	v_fma_f32 v29, v31, 2.0, -v18
	v_sub_f32_e32 v17, v51, v17
	v_sub_f32_e32 v5, v11, v5
	;; [unrolled: 1-line block ×7, first 2 shown]
	v_fma_f32 v21, v68, 2.0, -v13
	v_fma_f32 v24, v50, 2.0, -v4
	;; [unrolled: 1-line block ×4, first 2 shown]
	v_sub_f32_e32 v7, v12, v7
	v_fma_f32 v27, v52, 2.0, -v6
	v_fma_f32 v28, v76, 2.0, -v14
	;; [unrolled: 1-line block ×8, first 2 shown]
	v_add_f32_e32 v4, v10, v4
	v_fma_f32 v13, v13, 2.0, -v22
	v_sub_f32_e32 v6, v19, v6
	v_fma_f32 v16, v67, 2.0, -v10
	v_fma_f32 v12, v12, 2.0, -v7
	v_sub_f32_e32 v24, v21, v24
	v_fma_f32 v10, v10, 2.0, -v4
	v_sub_f32_e32 v27, v25, v27
	v_add_f32_e32 v7, v20, v7
	v_fma_f32 v19, v19, 2.0, -v6
	v_sub_f32_e32 v30, v28, v30
	v_sub_f32_e32 v11, v29, v11
	;; [unrolled: 1-line block ×4, first 2 shown]
	v_mov_b32_e32 v50, v13
	v_mov_b32_e32 v53, v4
	v_sub_f32_e32 v23, v16, v23
	v_sub_f32_e32 v12, v26, v12
	v_fma_f32 v20, v20, 2.0, -v7
	v_fma_f32 v28, v28, 2.0, -v30
	;; [unrolled: 1-line block ×3, first 2 shown]
	v_add_f32_e32 v5, v14, v5
	v_sub_f32_e32 v17, v18, v17
	v_fma_f32 v32, v32, 2.0, -v34
	v_fma_f32 v33, v33, 2.0, -v15
	v_mov_b32_e32 v49, v10
	v_fmac_f32_e32 v50, 0xbf3504f3, v19
	v_sub_f32_e32 v52, v24, v27
	v_fmac_f32_e32 v53, 0x3f3504f3, v7
	v_fma_f32 v21, v21, 2.0, -v24
	v_fma_f32 v25, v25, 2.0, -v27
	;; [unrolled: 1-line block ×4, first 2 shown]
	v_add_f32_e32 v9, v31, v9
	v_sub_f32_e32 v8, v3, v8
	v_fmac_f32_e32 v49, 0xbf3504f3, v20
	v_fmac_f32_e32 v50, 0xbf3504f3, v20
	v_add_f32_e32 v51, v23, v12
	v_fma_f32 v20, v24, 2.0, -v52
	v_mov_b32_e32 v54, v22
	v_fmac_f32_e32 v53, 0x3f3504f3, v6
	v_sub_f32_e32 v24, v28, v32
	v_sub_f32_e32 v27, v29, v33
	v_fma_f32 v16, v16, 2.0, -v23
	v_fma_f32 v31, v31, 2.0, -v9
	;; [unrolled: 1-line block ×3, first 2 shown]
	v_fmac_f32_e32 v49, 0x3f3504f3, v19
	v_fma_f32 v19, v23, 2.0, -v51
	v_fmac_f32_e32 v54, 0x3f3504f3, v6
	v_fma_f32 v23, v4, 2.0, -v53
	v_fma_f32 v4, v28, 2.0, -v24
	;; [unrolled: 1-line block ×3, first 2 shown]
	v_mov_b32_e32 v28, v14
	v_mov_b32_e32 v29, v18
	v_fmac_f32_e32 v28, 0xbf3504f3, v31
	v_fmac_f32_e32 v29, 0xbf3504f3, v3
	v_mov_b32_e32 v33, v5
	v_fma_f32 v13, v13, 2.0, -v50
	v_fmac_f32_e32 v28, 0x3f3504f3, v3
	v_fmac_f32_e32 v29, 0xbf3504f3, v31
	v_sub_f32_e32 v32, v11, v34
	v_fmac_f32_e32 v33, 0x3f3504f3, v9
	v_mov_b32_e32 v34, v17
	v_fma_f32 v26, v26, 2.0, -v12
	v_fma_f32 v10, v10, 2.0, -v49
	;; [unrolled: 1-line block ×4, first 2 shown]
	v_fmac_f32_e32 v34, 0x3f3504f3, v8
	v_fmac_f32_e32 v33, 0x3f3504f3, v8
	v_mov_b32_e32 v8, v13
	v_fmac_f32_e32 v54, 0xbf3504f3, v7
	v_mov_b32_e32 v7, v10
	v_fmac_f32_e32 v8, 0xbf6c835e, v14
	v_add_f32_e32 v31, v30, v15
	v_fma_f32 v18, v11, 2.0, -v32
	v_fmac_f32_e32 v7, 0xbf6c835e, v12
	v_fmac_f32_e32 v8, 0xbec3ef15, v12
	v_mov_b32_e32 v12, v20
	v_sub_f32_e32 v25, v16, v25
	v_fma_f32 v15, v30, 2.0, -v31
	v_mov_b32_e32 v11, v19
	v_fmac_f32_e32 v12, 0xbf3504f3, v18
	v_fma_f32 v16, v16, 2.0, -v25
	v_fmac_f32_e32 v34, 0xbf3504f3, v9
	v_fma_f32 v30, v5, 2.0, -v33
	v_fmac_f32_e32 v11, 0xbf3504f3, v15
	v_fmac_f32_e32 v12, 0xbf3504f3, v15
	v_mov_b32_e32 v15, v23
	v_fma_f32 v22, v22, 2.0, -v54
	v_fma_f32 v17, v17, 2.0, -v34
	v_sub_f32_e32 v3, v16, v4
	v_fmac_f32_e32 v15, 0xbec3ef15, v30
	v_fma_f32 v5, v16, 2.0, -v3
	v_mov_b32_e32 v16, v22
	v_fmac_f32_e32 v15, 0x3f6c835e, v17
	v_sub_f32_e32 v26, v21, v26
	v_fmac_f32_e32 v16, 0xbec3ef15, v17
	v_fma_f32 v17, v23, 2.0, -v15
	v_mov_b32_e32 v23, v49
	v_fma_f32 v21, v21, 2.0, -v26
	v_fmac_f32_e32 v7, 0x3ec3ef15, v14
	v_fmac_f32_e32 v11, 0x3f3504f3, v18
	;; [unrolled: 1-line block ×3, first 2 shown]
	v_sub_f32_e32 v4, v21, v6
	v_fma_f32 v9, v10, 2.0, -v7
	v_fma_f32 v10, v13, 2.0, -v8
	;; [unrolled: 1-line block ×4, first 2 shown]
	v_add_f32_e32 v19, v25, v27
	v_sub_f32_e32 v20, v26, v24
	v_mov_b32_e32 v24, v50
	v_fmac_f32_e32 v23, 0x3f6c835e, v29
	v_fma_f32 v6, v21, 2.0, -v4
	v_fma_f32 v21, v25, 2.0, -v19
	v_fmac_f32_e32 v24, 0x3ec3ef15, v29
	v_fma_f32 v25, v49, 2.0, -v23
	v_mov_b32_e32 v49, 0x3c0
	v_fmac_f32_e32 v24, 0xbf6c835e, v28
	v_mov_b32_e32 v27, v51
	v_mov_b32_e32 v28, v52
	v_cndmask_b32_e32 v49, 0, v49, vcc
	v_fmac_f32_e32 v27, 0x3f3504f3, v31
	v_fmac_f32_e32 v28, 0x3f3504f3, v32
	v_or_b32_e32 v35, v49, v35
	v_fmac_f32_e32 v27, 0x3f3504f3, v32
	v_fmac_f32_e32 v28, 0xbf3504f3, v31
	v_mov_b32_e32 v31, v53
	v_mov_b32_e32 v32, v54
	v_lshlrev_b32_e32 v35, 3, v35
	v_fmac_f32_e32 v16, 0xbf6c835e, v30
	v_fmac_f32_e32 v31, 0x3f6c835e, v33
	;; [unrolled: 1-line block ×3, first 2 shown]
	v_add3_u32 v35, 0, v35, v47
	v_fma_f32 v18, v22, 2.0, -v16
	v_fma_f32 v22, v26, 2.0, -v20
	;; [unrolled: 1-line block ×3, first 2 shown]
	v_fmac_f32_e32 v31, 0x3ec3ef15, v34
	v_fmac_f32_e32 v32, 0xbec3ef15, v33
	s_barrier
	ds_write2_b64 v35, v[5:6], v[9:10] offset1:60
	ds_write2_b64 v35, v[13:14], v[17:18] offset0:120 offset1:180
	v_add_u32_e32 v5, 0x400, v35
	v_fma_f32 v29, v51, 2.0, -v27
	v_fma_f32 v30, v52, 2.0, -v28
	;; [unrolled: 1-line block ×4, first 2 shown]
	ds_write2_b64 v5, v[21:22], v[25:26] offset0:112 offset1:172
	v_add_u32_e32 v5, 0x800, v35
	ds_write2_b64 v5, v[29:30], v[33:34] offset0:104 offset1:164
	v_add_u32_e32 v5, 0xc00, v35
	ds_write2_b64 v5, v[3:4], v[7:8] offset0:96 offset1:156
	v_add_u32_e32 v3, 0x1000, v35
	ds_write2_b64 v3, v[11:12], v[15:16] offset0:88 offset1:148
	v_add_u32_e32 v3, 0x1400, v35
	ds_write2_b64 v3, v[19:20], v[23:24] offset0:80 offset1:140
	v_add_u32_e32 v3, 0x1800, v35
	ds_write2_b64 v3, v[27:28], v[31:32] offset0:72 offset1:132
	v_add_co_u32_e32 v3, vcc, s12, v42
	v_addc_co_u32_e32 v4, vcc, v71, v43, vcc
	v_add_co_u32_e32 v3, vcc, s5, v3
	v_addc_co_u32_e32 v4, vcc, 0, v4, vcc
	s_waitcnt lgkmcnt(0)
	s_barrier
	global_load_dwordx2 v[31:32], v[3:4], off offset:3504
	v_add_co_u32_e32 v5, vcc, s12, v44
	v_addc_co_u32_e32 v6, vcc, v71, v45, vcc
	v_add_co_u32_e32 v3, vcc, s4, v5
	v_addc_co_u32_e32 v4, vcc, 0, v6, vcc
	global_load_dwordx2 v[33:34], v[3:4], off offset:368
	global_load_dwordx2 v[42:43], v[3:4], off offset:1328
	;; [unrolled: 1-line block ×3, first 2 shown]
	s_movk_i32 s4, 0x3000
	global_load_dwordx2 v[49:50], v[3:4], off offset:3248
	v_add_co_u32_e32 v3, vcc, s4, v5
	v_addc_co_u32_e32 v4, vcc, 0, v6, vcc
	global_load_dwordx2 v[51:52], v[3:4], off offset:112
	global_load_dwordx2 v[53:54], v[3:4], off offset:1072
	;; [unrolled: 1-line block ×3, first 2 shown]
	ds_read2_b64 v[3:6], v74 offset0:72 offset1:192
	ds_read2_b64 v[7:10], v39 offset0:120 offset1:240
	;; [unrolled: 1-line block ×7, first 2 shown]
	ds_read_b64 v[47:48], v48
	ds_read_b64 v[57:58], v39 offset:14400
	s_waitcnt vmcnt(0) lgkmcnt(0)
	s_barrier
	v_mul_f32_e32 v35, v32, v6
	v_fmac_f32_e32 v35, v31, v5
	v_mul_f32_e32 v5, v32, v5
	v_fma_f32 v6, v31, v6, -v5
	v_sub_f32_e32 v6, v48, v6
	v_mul_f32_e32 v5, v34, v11
	v_mul_f32_e32 v31, v34, v12
	v_fma_f32 v32, v33, v12, -v5
	v_mul_f32_e32 v5, v43, v13
	v_fmac_f32_e32 v31, v33, v11
	v_mul_f32_e32 v33, v43, v14
	v_fma_f32 v34, v42, v14, -v5
	v_mul_f32_e32 v5, v45, v19
	v_fmac_f32_e32 v33, v42, v13
	;; [unrolled: 4-line block ×6, first 2 shown]
	v_mul_f32_e32 v53, v58, v56
	v_fma_f32 v54, v58, v55, -v5
	v_sub_f32_e32 v5, v47, v35
	v_sub_f32_e32 v13, v7, v31
	;; [unrolled: 1-line block ×7, first 2 shown]
	v_fmac_f32_e32 v53, v57, v55
	v_fma_f32 v11, v47, 2.0, -v5
	v_fma_f32 v12, v48, 2.0, -v6
	;; [unrolled: 1-line block ×8, first 2 shown]
	v_sub_f32_e32 v27, v17, v44
	v_sub_f32_e32 v28, v18, v45
	;; [unrolled: 1-line block ×4, first 2 shown]
	ds_write_b64 v39, v[5:6] offset:7680
	ds_write2_b64 v39, v[11:12], v[7:8] offset1:120
	ds_write2_b64 v75, v[13:14], v[19:20] offset0:56 offset1:176
	v_add_u32_e32 v5, 0x400, v39
	v_fma_f32 v17, v17, 2.0, -v27
	v_fma_f32 v18, v18, 2.0, -v28
	;; [unrolled: 1-line block ×4, first 2 shown]
	v_sub_f32_e32 v31, v25, v51
	v_sub_f32_e32 v32, v26, v52
	;; [unrolled: 1-line block ×4, first 2 shown]
	ds_write2_b64 v5, v[9:10], v[15:16] offset0:112 offset1:232
	ds_write2_b64 v2, v[21:22], v[27:28] offset0:40 offset1:160
	v_add_u32_e32 v2, 0xc00, v39
	v_fma_f32 v25, v25, 2.0, -v31
	v_fma_f32 v26, v26, 2.0, -v32
	;; [unrolled: 1-line block ×4, first 2 shown]
	ds_write2_b64 v2, v[17:18], v[23:24] offset0:96 offset1:216
	ds_write2_b64 v0, v[29:30], v[31:32] offset0:24 offset1:144
	v_add_u32_e32 v0, 0x1400, v39
	ds_write2_b64 v0, v[25:26], v[3:4] offset0:80 offset1:200
	ds_write_b64 v39, v[33:34] offset:14400
	s_waitcnt lgkmcnt(0)
	s_barrier
	s_and_saveexec_b64 s[4:5], s[0:1]
	s_cbranch_execz .LBB0_27
; %bb.26:
	v_mul_lo_u32 v0, s3, v40
	v_mul_lo_u32 v2, s2, v41
	v_mad_u64_u32 v[6:7], s[0:1], s2, v40, 0
	v_lshl_add_u32 v8, v38, 3, v46
	v_mov_b32_e32 v39, v1
	v_add3_u32 v7, v7, v2, v0
	v_lshlrev_b64 v[6:7], 3, v[6:7]
	v_mov_b32_e32 v0, s11
	v_add_co_u32_e32 v9, vcc, s10, v6
	v_addc_co_u32_e32 v0, vcc, v0, v7, vcc
	v_lshlrev_b64 v[6:7], 3, v[36:37]
	ds_read2_b64 v[2:5], v8 offset1:120
	v_add_co_u32_e32 v9, vcc, v9, v6
	v_addc_co_u32_e32 v10, vcc, v0, v7, vcc
	v_lshlrev_b64 v[6:7], 3, v[38:39]
	v_add_u32_e32 v0, 0x78, v38
	v_add_co_u32_e32 v6, vcc, v9, v6
	v_addc_co_u32_e32 v7, vcc, v10, v7, vcc
	s_waitcnt lgkmcnt(0)
	global_store_dwordx2 v[6:7], v[2:3], off
	v_lshlrev_b64 v[2:3], 3, v[0:1]
	v_add_u32_e32 v0, 0xf0, v38
	v_add_co_u32_e32 v2, vcc, v9, v2
	v_addc_co_u32_e32 v3, vcc, v10, v3, vcc
	global_store_dwordx2 v[2:3], v[4:5], off
	v_add_u32_e32 v2, 0x400, v8
	ds_read2_b64 v[2:5], v2 offset0:112 offset1:232
	v_lshlrev_b64 v[6:7], 3, v[0:1]
	v_add_u32_e32 v0, 0x168, v38
	v_add_co_u32_e32 v6, vcc, v9, v6
	v_addc_co_u32_e32 v7, vcc, v10, v7, vcc
	s_waitcnt lgkmcnt(0)
	global_store_dwordx2 v[6:7], v[2:3], off
	v_lshlrev_b64 v[2:3], 3, v[0:1]
	v_add_u32_e32 v0, 0x1e0, v38
	v_add_co_u32_e32 v2, vcc, v9, v2
	v_addc_co_u32_e32 v3, vcc, v10, v3, vcc
	global_store_dwordx2 v[2:3], v[4:5], off
	v_add_u32_e32 v2, 0xc00, v8
	ds_read2_b64 v[2:5], v2 offset0:96 offset1:216
	;; [unrolled: 13-line block ×6, first 2 shown]
	v_lshlrev_b64 v[6:7], 3, v[0:1]
	v_add_u32_e32 v0, 0x618, v38
	v_add_co_u32_e32 v6, vcc, v9, v6
	v_addc_co_u32_e32 v7, vcc, v10, v7, vcc
	s_waitcnt lgkmcnt(0)
	global_store_dwordx2 v[6:7], v[2:3], off
	v_lshlrev_b64 v[2:3], 3, v[0:1]
	v_add_u32_e32 v0, 0x690, v38
	v_add_co_u32_e32 v2, vcc, v9, v2
	v_addc_co_u32_e32 v3, vcc, v10, v3, vcc
	global_store_dwordx2 v[2:3], v[4:5], off
	v_add_u32_e32 v2, 0x3400, v8
	v_lshlrev_b64 v[6:7], 3, v[0:1]
	ds_read2_b64 v[2:5], v2 offset0:16 offset1:136
	v_add_u32_e32 v0, 0x708, v38
	v_add_co_u32_e32 v6, vcc, v9, v6
	v_lshlrev_b64 v[0:1], 3, v[0:1]
	v_addc_co_u32_e32 v7, vcc, v10, v7, vcc
	v_add_co_u32_e32 v0, vcc, v9, v0
	v_addc_co_u32_e32 v1, vcc, v10, v1, vcc
	s_waitcnt lgkmcnt(0)
	global_store_dwordx2 v[6:7], v[2:3], off
	global_store_dwordx2 v[0:1], v[4:5], off
.LBB0_27:
	s_endpgm
	.section	.rodata,"a",@progbits
	.p2align	6, 0x0
	.amdhsa_kernel fft_rtc_back_len1920_factors_10_6_16_2_wgs_240_tpt_120_halfLds_sp_op_CI_CI_unitstride_sbrr_C2R_dirReg
		.amdhsa_group_segment_fixed_size 0
		.amdhsa_private_segment_fixed_size 0
		.amdhsa_kernarg_size 104
		.amdhsa_user_sgpr_count 6
		.amdhsa_user_sgpr_private_segment_buffer 1
		.amdhsa_user_sgpr_dispatch_ptr 0
		.amdhsa_user_sgpr_queue_ptr 0
		.amdhsa_user_sgpr_kernarg_segment_ptr 1
		.amdhsa_user_sgpr_dispatch_id 0
		.amdhsa_user_sgpr_flat_scratch_init 0
		.amdhsa_user_sgpr_private_segment_size 0
		.amdhsa_uses_dynamic_stack 0
		.amdhsa_system_sgpr_private_segment_wavefront_offset 0
		.amdhsa_system_sgpr_workgroup_id_x 1
		.amdhsa_system_sgpr_workgroup_id_y 0
		.amdhsa_system_sgpr_workgroup_id_z 0
		.amdhsa_system_sgpr_workgroup_info 0
		.amdhsa_system_vgpr_workitem_id 0
		.amdhsa_next_free_vgpr 84
		.amdhsa_next_free_sgpr 28
		.amdhsa_reserve_vcc 1
		.amdhsa_reserve_flat_scratch 0
		.amdhsa_float_round_mode_32 0
		.amdhsa_float_round_mode_16_64 0
		.amdhsa_float_denorm_mode_32 3
		.amdhsa_float_denorm_mode_16_64 3
		.amdhsa_dx10_clamp 1
		.amdhsa_ieee_mode 1
		.amdhsa_fp16_overflow 0
		.amdhsa_exception_fp_ieee_invalid_op 0
		.amdhsa_exception_fp_denorm_src 0
		.amdhsa_exception_fp_ieee_div_zero 0
		.amdhsa_exception_fp_ieee_overflow 0
		.amdhsa_exception_fp_ieee_underflow 0
		.amdhsa_exception_fp_ieee_inexact 0
		.amdhsa_exception_int_div_zero 0
	.end_amdhsa_kernel
	.text
.Lfunc_end0:
	.size	fft_rtc_back_len1920_factors_10_6_16_2_wgs_240_tpt_120_halfLds_sp_op_CI_CI_unitstride_sbrr_C2R_dirReg, .Lfunc_end0-fft_rtc_back_len1920_factors_10_6_16_2_wgs_240_tpt_120_halfLds_sp_op_CI_CI_unitstride_sbrr_C2R_dirReg
                                        ; -- End function
	.section	.AMDGPU.csdata,"",@progbits
; Kernel info:
; codeLenInByte = 9872
; NumSgprs: 32
; NumVgprs: 84
; ScratchSize: 0
; MemoryBound: 0
; FloatMode: 240
; IeeeMode: 1
; LDSByteSize: 0 bytes/workgroup (compile time only)
; SGPRBlocks: 3
; VGPRBlocks: 20
; NumSGPRsForWavesPerEU: 32
; NumVGPRsForWavesPerEU: 84
; Occupancy: 3
; WaveLimiterHint : 1
; COMPUTE_PGM_RSRC2:SCRATCH_EN: 0
; COMPUTE_PGM_RSRC2:USER_SGPR: 6
; COMPUTE_PGM_RSRC2:TRAP_HANDLER: 0
; COMPUTE_PGM_RSRC2:TGID_X_EN: 1
; COMPUTE_PGM_RSRC2:TGID_Y_EN: 0
; COMPUTE_PGM_RSRC2:TGID_Z_EN: 0
; COMPUTE_PGM_RSRC2:TIDIG_COMP_CNT: 0
	.type	__hip_cuid_7090b3b724b2985c,@object ; @__hip_cuid_7090b3b724b2985c
	.section	.bss,"aw",@nobits
	.globl	__hip_cuid_7090b3b724b2985c
__hip_cuid_7090b3b724b2985c:
	.byte	0                               ; 0x0
	.size	__hip_cuid_7090b3b724b2985c, 1

	.ident	"AMD clang version 19.0.0git (https://github.com/RadeonOpenCompute/llvm-project roc-6.4.0 25133 c7fe45cf4b819c5991fe208aaa96edf142730f1d)"
	.section	".note.GNU-stack","",@progbits
	.addrsig
	.addrsig_sym __hip_cuid_7090b3b724b2985c
	.amdgpu_metadata
---
amdhsa.kernels:
  - .args:
      - .actual_access:  read_only
        .address_space:  global
        .offset:         0
        .size:           8
        .value_kind:     global_buffer
      - .offset:         8
        .size:           8
        .value_kind:     by_value
      - .actual_access:  read_only
        .address_space:  global
        .offset:         16
        .size:           8
        .value_kind:     global_buffer
      - .actual_access:  read_only
        .address_space:  global
        .offset:         24
        .size:           8
        .value_kind:     global_buffer
      - .actual_access:  read_only
        .address_space:  global
        .offset:         32
        .size:           8
        .value_kind:     global_buffer
      - .offset:         40
        .size:           8
        .value_kind:     by_value
      - .actual_access:  read_only
        .address_space:  global
        .offset:         48
        .size:           8
        .value_kind:     global_buffer
      - .actual_access:  read_only
        .address_space:  global
        .offset:         56
        .size:           8
        .value_kind:     global_buffer
      - .offset:         64
        .size:           4
        .value_kind:     by_value
      - .actual_access:  read_only
        .address_space:  global
        .offset:         72
        .size:           8
        .value_kind:     global_buffer
      - .actual_access:  read_only
        .address_space:  global
        .offset:         80
        .size:           8
        .value_kind:     global_buffer
      - .actual_access:  read_only
        .address_space:  global
        .offset:         88
        .size:           8
        .value_kind:     global_buffer
      - .actual_access:  write_only
        .address_space:  global
        .offset:         96
        .size:           8
        .value_kind:     global_buffer
    .group_segment_fixed_size: 0
    .kernarg_segment_align: 8
    .kernarg_segment_size: 104
    .language:       OpenCL C
    .language_version:
      - 2
      - 0
    .max_flat_workgroup_size: 240
    .name:           fft_rtc_back_len1920_factors_10_6_16_2_wgs_240_tpt_120_halfLds_sp_op_CI_CI_unitstride_sbrr_C2R_dirReg
    .private_segment_fixed_size: 0
    .sgpr_count:     32
    .sgpr_spill_count: 0
    .symbol:         fft_rtc_back_len1920_factors_10_6_16_2_wgs_240_tpt_120_halfLds_sp_op_CI_CI_unitstride_sbrr_C2R_dirReg.kd
    .uniform_work_group_size: 1
    .uses_dynamic_stack: false
    .vgpr_count:     84
    .vgpr_spill_count: 0
    .wavefront_size: 64
amdhsa.target:   amdgcn-amd-amdhsa--gfx906
amdhsa.version:
  - 1
  - 2
...

	.end_amdgpu_metadata
